;; amdgpu-corpus repo=ROCm/rocFFT kind=compiled arch=gfx950 opt=O3
	.text
	.amdgcn_target "amdgcn-amd-amdhsa--gfx950"
	.amdhsa_code_object_version 6
	.protected	fft_rtc_fwd_len200_factors_8_5_5_wgs_400_tpt_40_sp_op_CI_CI_sbrc_z_xy_diag ; -- Begin function fft_rtc_fwd_len200_factors_8_5_5_wgs_400_tpt_40_sp_op_CI_CI_sbrc_z_xy_diag
	.globl	fft_rtc_fwd_len200_factors_8_5_5_wgs_400_tpt_40_sp_op_CI_CI_sbrc_z_xy_diag
	.p2align	8
	.type	fft_rtc_fwd_len200_factors_8_5_5_wgs_400_tpt_40_sp_op_CI_CI_sbrc_z_xy_diag,@function
fft_rtc_fwd_len200_factors_8_5_5_wgs_400_tpt_40_sp_op_CI_CI_sbrc_z_xy_diag: ; @fft_rtc_fwd_len200_factors_8_5_5_wgs_400_tpt_40_sp_op_CI_CI_sbrc_z_xy_diag
; %bb.0:
	s_load_dwordx8 s[4:11], s[0:1], 0x0
	v_mul_u32_u24_e32 v2, 0x148, v0
	v_lshrrev_b32_e32 v20, 16, v2
	v_mov_b32_e32 v15, 0
	s_waitcnt lgkmcnt(0)
	s_load_dwordx4 s[12:15], s[8:9], 0x8
	s_mov_b32 s9, 0
	s_waitcnt lgkmcnt(0)
	s_add_i32 s3, s12, -1
	s_mul_hi_u32 s3, s3, 0xcccccccd
	s_lshr_b32 s3, s3, 3
	s_add_i32 s3, s3, 1
	s_mul_i32 s3, s3, s14
	v_cvt_f32_u32_e32 v1, s3
	s_load_dwordx4 s[12:15], s[0:1], 0x58
	s_load_dwordx2 s[20:21], s[0:1], 0x20
	s_sub_i32 s0, 0, s3
	s_load_dwordx4 s[16:19], s[10:11], 0x0
	s_load_dword s8, s[10:11], 0x10
	v_rcp_iflag_f32_e32 v1, v1
	s_waitcnt lgkmcnt(0)
	v_mul_lo_u32 v14, s18, v20
	v_mul_f32_e32 v1, 0x4f7ffffe, v1
	v_cvt_u32_f32_e32 v1, v1
	s_nop 0
	v_readfirstlane_b32 s1, v1
	s_mul_i32 s0, s0, s1
	s_mul_hi_u32 s0, s1, s0
	s_add_i32 s1, s1, s0
	s_mul_hi_u32 s0, s2, s1
	s_mul_i32 s1, s0, s3
	s_sub_i32 s1, s2, s1
	s_add_i32 s19, s0, 1
	s_sub_i32 s22, s1, s3
	s_cmp_ge_u32 s1, s3
	s_cselect_b32 s0, s19, s0
	s_cselect_b32 s1, s22, s1
	s_add_i32 s19, s0, 1
	s_cmp_ge_u32 s1, s3
	s_cselect_b32 s19, s19, s0
	s_mul_i32 s3, s19, s3
	s_sub_i32 s2, s2, s3
	s_mul_hi_u32 s3, s2, 0xcccccccd
	s_lshr_b32 s3, s3, 5
	s_lshl_b64 s[0:1], s[6:7], 3
	s_mul_i32 s6, s3, 40
	s_sub_i32 s22, s2, s6
	s_add_i32 s3, s3, s22
	s_mul_hi_u32 s2, s3, 0x51eb851f
	s_lshr_b32 s2, s2, 6
	s_mulk_i32 s2, 0xc8
	s_mul_i32 s22, s22, 10
	s_sub_i32 s23, s3, s2
	s_mul_i32 s6, s22, s18
	s_mul_i32 s2, s23, s8
	s_add_i32 s8, s2, s6
	s_add_u32 s2, s10, s0
	s_addc_u32 s3, s11, s1
	s_load_dwordx2 s[2:3], s[2:3], 0x0
	v_mul_lo_u16_e32 v1, 0xc8, v20
	v_sub_u16_e32 v1, v0, v1
	v_mad_u64_u32 v[2:3], s[6:7], s16, v1, 0
	s_waitcnt lgkmcnt(0)
	s_mul_i32 s3, s3, s19
	s_mul_hi_u32 s6, s2, s19
	s_add_i32 s3, s6, s3
	s_add_u32 s10, s20, s0
	v_mov_b32_e32 v4, v3
	s_mul_i32 s2, s2, s19
	s_addc_u32 s11, s21, s1
	v_mad_u64_u32 v[4:5], s[0:1], s17, v1, v[4:5]
	s_lshl_b64 s[0:1], s[2:3], 3
	s_add_u32 s2, s12, s0
	s_addc_u32 s3, s13, s1
	s_lshl_b64 s[0:1], s[8:9], 3
	s_add_u32 s0, s2, s0
	v_mov_b32_e32 v3, v4
	s_addc_u32 s1, s3, s1
	v_lshl_add_u64 v[2:3], v[2:3], 3, s[0:1]
	s_lshl_b32 s0, s18, 1
	v_lshl_add_u64 v[4:5], v[14:15], 3, v[2:3]
	v_add_u32_e32 v14, s0, v14
	v_lshl_add_u64 v[6:7], v[14:15], 3, v[2:3]
	v_add_u32_e32 v14, s0, v14
	;; [unrolled: 2-line block ×3, first 2 shown]
	v_lshl_add_u64 v[10:11], v[14:15], 3, v[2:3]
	global_load_dwordx2 v[12:13], v[4:5], off
	global_load_dwordx2 v[16:17], v[6:7], off
	;; [unrolled: 1-line block ×4, first 2 shown]
	v_add_u32_e32 v14, s0, v14
	v_lshl_add_u64 v[2:3], v[14:15], 3, v[2:3]
	global_load_dwordx2 v[2:3], v[2:3], off
	v_mul_u32_u24_e32 v5, 0x667, v0
	v_mul_u32_u24_e32 v6, 0x640, v20
	v_lshlrev_b32_e32 v1, 3, v1
	v_mov_b32_e32 v4, 40
	v_add3_u32 v6, 0, v6, v1
	v_add_u16_sdwa v1, v5, s22 dst_sel:DWORD dst_unused:UNUSED_PAD src0_sel:WORD_1 src1_sel:DWORD
	v_mul_lo_u16_sdwa v4, v5, v4 dst_sel:DWORD dst_unused:UNUSED_PAD src0_sel:WORD_1 src1_sel:DWORD
	v_mul_u32_u24_e32 v5, 0xcccd, v1
	v_lshrrev_b32_e32 v5, 19, v5
	v_mul_lo_u16_e32 v5, 10, v5
	v_sub_u16_e32 v14, v0, v4
	v_sub_u16_e32 v1, v1, v5
	v_lshlrev_b32_e32 v4, 3, v14
	v_mul_lo_u16_e32 v1, 0xc8, v1
	v_add_u32_e32 v22, 0, v4
	v_lshlrev_b32_e32 v21, 3, v1
	v_add_u32_e32 v1, v22, v21
	s_load_dwordx4 s[0:3], s[20:21], 0x0
	s_load_dwordx2 s[6:7], s[20:21], 0x10
	v_add3_u32 v20, 0, v21, v4
	s_load_dwordx2 s[10:11], s[10:11], 0x0
	v_cmp_gt_u16_e32 vcc, 25, v14
	s_waitcnt vmcnt(4)
	ds_write_b64 v6, v[12:13]
	s_waitcnt vmcnt(3)
	ds_write_b64 v6, v[16:17] offset:3200
	s_waitcnt vmcnt(2)
	ds_write_b64 v6, v[18:19] offset:6400
	;; [unrolled: 2-line block ×4, first 2 shown]
	s_waitcnt lgkmcnt(0)
	s_barrier
	ds_read2_b64 v[2:5], v1 offset0:25 offset1:50
	ds_read2_b64 v[6:9], v1 offset0:75 offset1:100
	;; [unrolled: 1-line block ×3, first 2 shown]
	ds_read_b64 v[16:17], v20
	ds_read_b64 v[18:19], v1 offset:1400
	s_waitcnt lgkmcnt(0)
	s_barrier
	s_and_saveexec_b64 s[12:13], vcc
	s_cbranch_execz .LBB0_2
; %bb.1:
	v_pk_add_f32 v[12:13], v[4:5], v[12:13] neg_lo:[0,1] neg_hi:[0,1]
	v_pk_add_f32 v[8:9], v[16:17], v[8:9] neg_lo:[0,1] neg_hi:[0,1]
	v_mul_u32_u24_e32 v23, 56, v14
	v_pk_add_f32 v[10:11], v[2:3], v[10:11] neg_lo:[0,1] neg_hi:[0,1]
	v_pk_add_f32 v[18:19], v[6:7], v[18:19] neg_lo:[0,1] neg_hi:[0,1]
	v_add3_u32 v26, v22, v23, v21
	v_pk_fma_f32 v[4:5], v[4:5], 2.0, v[12:13] op_sel_hi:[1,0,1] neg_lo:[0,0,1] neg_hi:[0,0,1]
	v_pk_add_f32 v[22:23], v[8:9], v[12:13] op_sel:[0,1] op_sel_hi:[1,0] neg_lo:[0,1] neg_hi:[0,1]
	v_pk_add_f32 v[12:13], v[8:9], v[12:13] op_sel:[0,1] op_sel_hi:[1,0]
	v_pk_fma_f32 v[6:7], v[6:7], 2.0, v[18:19] op_sel_hi:[1,0,1] neg_lo:[0,0,1] neg_hi:[0,0,1]
	v_mov_b32_e32 v23, v13
	v_pk_add_f32 v[12:13], v[10:11], v[18:19] op_sel:[0,1] op_sel_hi:[1,0] neg_lo:[0,1] neg_hi:[0,1]
	v_pk_add_f32 v[18:19], v[10:11], v[18:19] op_sel:[0,1] op_sel_hi:[1,0]
	v_pk_fma_f32 v[16:17], v[16:17], 2.0, v[8:9] op_sel_hi:[1,0,1] neg_lo:[0,0,1] neg_hi:[0,0,1]
	v_mov_b32_e32 v13, v19
	v_pk_fma_f32 v[2:3], v[2:3], 2.0, v[10:11] op_sel_hi:[1,0,1] neg_lo:[0,0,1] neg_hi:[0,0,1]
	v_pk_fma_f32 v[10:11], v[10:11], 2.0, v[12:13] op_sel_hi:[1,0,1] neg_lo:[0,0,1] neg_hi:[0,0,1]
	s_mov_b32 s8, 0x3f3504f3
	v_pk_fma_f32 v[8:9], v[8:9], 2.0, v[22:23] op_sel_hi:[1,0,1] neg_lo:[0,0,1] neg_hi:[0,0,1]
	v_pk_add_f32 v[4:5], v[16:17], v[4:5] neg_lo:[0,1] neg_hi:[0,1]
	v_pk_add_f32 v[6:7], v[2:3], v[6:7] neg_lo:[0,1] neg_hi:[0,1]
	v_pk_mul_f32 v[18:19], v[10:11], s[8:9] op_sel_hi:[1,0]
	v_pk_fma_f32 v[10:11], v[10:11], s[8:9], v[8:9] op_sel_hi:[1,0,1] neg_lo:[1,0,0] neg_hi:[1,0,0]
	v_pk_fma_f32 v[16:17], v[16:17], 2.0, v[4:5] op_sel_hi:[1,0,1] neg_lo:[0,0,1] neg_hi:[0,0,1]
	v_pk_fma_f32 v[2:3], v[2:3], 2.0, v[6:7] op_sel_hi:[1,0,1] neg_lo:[0,0,1] neg_hi:[0,0,1]
	v_pk_add_f32 v[24:25], v[10:11], v[18:19] op_sel:[0,1] op_sel_hi:[1,0] neg_lo:[0,1] neg_hi:[0,1]
	v_pk_add_f32 v[10:11], v[10:11], v[18:19] op_sel:[0,1] op_sel_hi:[1,0]
	v_pk_add_f32 v[2:3], v[16:17], v[2:3] neg_lo:[0,1] neg_hi:[0,1]
	v_mov_b32_e32 v25, v11
	v_pk_fma_f32 v[16:17], v[16:17], 2.0, v[2:3] op_sel_hi:[1,0,1] neg_lo:[0,0,1] neg_hi:[0,0,1]
	v_pk_fma_f32 v[8:9], v[8:9], 2.0, v[24:25] op_sel_hi:[1,0,1] neg_lo:[0,0,1] neg_hi:[0,0,1]
	ds_write2_b64 v26, v[16:17], v[8:9] offset1:1
	v_pk_mul_f32 v[16:17], v[12:13], s[8:9] op_sel_hi:[1,0]
	v_pk_fma_f32 v[12:13], v[12:13], s[8:9], v[22:23] op_sel_hi:[1,0,1]
	v_pk_add_f32 v[8:9], v[4:5], v[6:7] op_sel:[0,1] op_sel_hi:[1,0] neg_lo:[0,1] neg_hi:[0,1]
	v_pk_add_f32 v[6:7], v[4:5], v[6:7] op_sel:[0,1] op_sel_hi:[1,0]
	v_pk_add_f32 v[18:19], v[12:13], v[16:17] op_sel:[0,1] op_sel_hi:[1,0] neg_lo:[0,1] neg_hi:[0,1]
	v_pk_add_f32 v[12:13], v[12:13], v[16:17] op_sel:[0,1] op_sel_hi:[1,0]
	v_mov_b32_e32 v9, v7
	v_mov_b32_e32 v19, v13
	v_pk_fma_f32 v[4:5], v[4:5], 2.0, v[8:9] op_sel_hi:[1,0,1] neg_lo:[0,0,1] neg_hi:[0,0,1]
	v_pk_fma_f32 v[16:17], v[22:23], 2.0, v[18:19] op_sel_hi:[1,0,1] neg_lo:[0,0,1] neg_hi:[0,0,1]
	ds_write2_b64 v26, v[4:5], v[16:17] offset0:2 offset1:3
	ds_write2_b64 v26, v[2:3], v[24:25] offset0:4 offset1:5
	;; [unrolled: 1-line block ×3, first 2 shown]
.LBB0_2:
	s_or_b64 exec, exec, s[12:13]
	v_and_b32_e32 v24, 7, v14
	v_lshlrev_b32_e32 v10, 5, v24
	s_waitcnt lgkmcnt(0)
	s_barrier
	global_load_dwordx4 v[2:5], v10, s[4:5]
	global_load_dwordx4 v[6:9], v10, s[4:5] offset:16
	ds_read2_b32 v[22:23], v20 offset1:1
	ds_read2_b64 v[10:13], v1 offset0:40 offset1:80
	ds_read2_b64 v[16:19], v1 offset0:120 offset1:160
	v_lshrrev_b32_e32 v25, 3, v14
	v_mul_u32_u24_e32 v25, 40, v25
	v_or_b32_e32 v24, v25, v24
	v_lshlrev_b32_e32 v24, 3, v24
	v_add3_u32 v21, 0, v24, v21
	s_mov_b32 s16, 0x3f737871
	s_mov_b32 s18, 0x3f167918
	;; [unrolled: 1-line block ×3, first 2 shown]
	v_lshlrev_b32_e32 v14, 5, v14
	s_waitcnt lgkmcnt(0)
	s_barrier
	s_mul_i32 s8, s23, s2
	s_mul_i32 s7, s11, s19
	s_mul_hi_u32 s11, s10, s19
	s_mul_i32 s2, s10, s19
	s_movk_i32 s10, 0x199a
	s_mul_i32 s3, s1, s22
	s_waitcnt vmcnt(1)
	v_pk_mul_f32 v[24:25], v[2:3], v[10:11] op_sel:[0,1]
	v_pk_mul_f32 v[26:27], v[4:5], v[12:13] op_sel:[0,1]
	s_waitcnt vmcnt(0)
	v_pk_mul_f32 v[28:29], v[6:7], v[16:17] op_sel:[0,1]
	v_pk_mul_f32 v[30:31], v[8:9], v[18:19] op_sel:[0,1]
	v_pk_fma_f32 v[32:33], v[2:3], v[10:11], v[24:25] op_sel:[0,0,1] op_sel_hi:[1,1,0] neg_lo:[0,0,1] neg_hi:[0,0,1]
	v_pk_fma_f32 v[2:3], v[2:3], v[10:11], v[24:25] op_sel:[0,0,1] op_sel_hi:[1,0,0]
	v_pk_fma_f32 v[10:11], v[4:5], v[12:13], v[26:27] op_sel:[0,0,1] op_sel_hi:[1,1,0] neg_lo:[0,0,1] neg_hi:[0,0,1]
	v_pk_fma_f32 v[4:5], v[4:5], v[12:13], v[26:27] op_sel:[0,0,1] op_sel_hi:[1,0,0]
	;; [unrolled: 2-line block ×4, first 2 shown]
	v_mov_b32_e32 v33, v3
	v_mov_b32_e32 v11, v5
	;; [unrolled: 1-line block ×4, first 2 shown]
	v_pk_add_f32 v[2:3], v[32:33], v[22:23]
	v_pk_add_f32 v[4:5], v[10:11], v[12:13]
	v_pk_add_f32 v[6:7], v[32:33], v[16:17] neg_lo:[0,1] neg_hi:[0,1]
	v_pk_add_f32 v[8:9], v[10:11], v[12:13] neg_lo:[0,1] neg_hi:[0,1]
	v_pk_add_f32 v[26:27], v[32:33], v[16:17]
	v_pk_add_f32 v[18:19], v[32:33], v[10:11] neg_lo:[0,1] neg_hi:[0,1]
	v_pk_add_f32 v[28:29], v[10:11], v[32:33] neg_lo:[0,1] neg_hi:[0,1]
	v_pk_add_f32 v[2:3], v[2:3], v[10:11]
	v_pk_fma_f32 v[4:5], v[4:5], 0.5, v[22:23] op_sel_hi:[1,0,1] neg_lo:[1,0,0] neg_hi:[1,0,0]
	v_pk_mul_f32 v[10:11], v[6:7], s[16:17] op_sel_hi:[1,0]
	v_pk_mul_f32 v[32:33], v[8:9], s[18:19] op_sel_hi:[1,0]
	v_pk_fma_f32 v[22:23], v[26:27], 0.5, v[22:23] op_sel_hi:[1,0,1] neg_lo:[1,0,0] neg_hi:[1,0,0]
	v_pk_mul_f32 v[8:9], v[8:9], s[16:17] op_sel_hi:[1,0]
	v_pk_add_f32 v[24:25], v[16:17], v[12:13] neg_lo:[0,1] neg_hi:[0,1]
	v_pk_add_f32 v[30:31], v[12:13], v[16:17] neg_lo:[0,1] neg_hi:[0,1]
	v_pk_mul_f32 v[6:7], v[6:7], s[18:19] op_sel_hi:[1,0]
	v_pk_add_f32 v[2:3], v[2:3], v[12:13]
	v_pk_add_f32 v[12:13], v[4:5], v[10:11] op_sel:[0,1] op_sel_hi:[1,0]
	v_pk_add_f32 v[4:5], v[4:5], v[10:11] op_sel:[0,1] op_sel_hi:[1,0] neg_lo:[0,1] neg_hi:[0,1]
	v_pk_add_f32 v[10:11], v[22:23], v[8:9] op_sel:[0,1] op_sel_hi:[1,0] neg_lo:[0,1] neg_hi:[0,1]
	v_pk_add_f32 v[8:9], v[22:23], v[8:9] op_sel:[0,1] op_sel_hi:[1,0]
	v_pk_add_f32 v[4:5], v[4:5], v[32:33] op_sel:[0,1] op_sel_hi:[1,0] neg_lo:[0,1] neg_hi:[0,1]
	v_pk_add_f32 v[12:13], v[12:13], v[32:33] op_sel:[0,1] op_sel_hi:[1,0]
	;; [unrolled: 2-line block ×3, first 2 shown]
	v_pk_add_f32 v[18:19], v[18:19], v[24:25]
	v_pk_add_f32 v[24:25], v[28:29], v[30:31]
	;; [unrolled: 1-line block ×3, first 2 shown]
	v_mov_b32_e32 v10, v12
	v_mov_b32_e32 v11, v5
	;; [unrolled: 1-line block ×6, first 2 shown]
	v_pk_fma_f32 v[6:7], v[18:19], s[12:13], v[10:11] op_sel_hi:[1,0,1]
	v_pk_fma_f32 v[8:9], v[24:25], s[12:13], v[8:9] op_sel_hi:[1,0,1]
	;; [unrolled: 1-line block ×4, first 2 shown]
	ds_write2_b64 v21, v[2:3], v[6:7] offset1:8
	ds_write2_b64 v21, v[10:11], v[8:9] offset0:16 offset1:24
	ds_write_b64 v21, v[4:5] offset:256
	s_waitcnt lgkmcnt(0)
	s_barrier
	global_load_dwordx4 v[2:5], v14, s[4:5] offset:256
	global_load_dwordx4 v[6:9], v14, s[4:5] offset:272
	s_mul_hi_u32 s5, s0, s22
	v_mul_u32_u24_sdwa v10, v0, s10 dst_sel:DWORD dst_unused:UNUSED_PAD src0_sel:WORD_0 src1_sel:DWORD
	s_add_i32 s5, s5, s3
	s_add_i32 s3, s11, s7
	v_lshrrev_b32_e32 v10, 16, v10
	s_lshl_b64 s[2:3], s[2:3], 3
	v_mul_lo_u16_e32 v11, 10, v10
	s_mul_i32 s4, s0, s22
	v_mul_lo_u32 v14, s6, v10
	v_lshlrev_b32_e32 v34, 3, v10
	s_add_u32 s7, s14, s2
	v_sub_u16_e32 v10, v0, v11
	s_addc_u32 s10, s15, s3
	s_lshl_b64 s[2:3], s[4:5], 3
	v_mad_u64_u32 v[22:23], s[4:5], s0, v10, 0
	v_mul_lo_u16_e32 v11, 0xc8, v10
	v_mov_b32_e32 v0, v23
	v_lshlrev_b32_e32 v35, 3, v11
	v_mad_u64_u32 v[10:11], s[0:1], s1, v10, v[0:1]
	v_mov_b32_e32 v23, v10
	ds_read2_b32 v[20:21], v20 offset1:1
	ds_read2_b64 v[10:13], v1 offset0:40 offset1:80
	ds_read2_b64 v[16:19], v1 offset0:120 offset1:160
	s_add_u32 s2, s7, s2
	v_add3_u32 v0, 0, v35, v34
	s_addc_u32 s3, s10, s3
	s_waitcnt lgkmcnt(0)
	s_barrier
	s_lshl_b64 s[0:1], s[8:9], 3
	s_add_u32 s0, s2, s0
	s_addc_u32 s1, s3, s1
	s_waitcnt vmcnt(1)
	v_pk_mul_f32 v[24:25], v[2:3], v[10:11] op_sel:[0,1]
	v_pk_mul_f32 v[26:27], v[4:5], v[12:13] op_sel:[0,1]
	s_waitcnt vmcnt(0)
	v_pk_mul_f32 v[28:29], v[6:7], v[16:17] op_sel:[0,1]
	v_pk_mul_f32 v[30:31], v[8:9], v[18:19] op_sel:[0,1]
	v_pk_fma_f32 v[32:33], v[2:3], v[10:11], v[24:25] op_sel:[0,0,1] op_sel_hi:[1,1,0] neg_lo:[0,0,1] neg_hi:[0,0,1]
	v_pk_fma_f32 v[2:3], v[2:3], v[10:11], v[24:25] op_sel:[0,0,1] op_sel_hi:[1,0,0]
	v_pk_fma_f32 v[10:11], v[4:5], v[12:13], v[26:27] op_sel:[0,0,1] op_sel_hi:[1,1,0] neg_lo:[0,0,1] neg_hi:[0,0,1]
	v_pk_fma_f32 v[4:5], v[4:5], v[12:13], v[26:27] op_sel:[0,0,1] op_sel_hi:[1,0,0]
	;; [unrolled: 2-line block ×4, first 2 shown]
	v_mov_b32_e32 v33, v3
	v_mov_b32_e32 v11, v5
	;; [unrolled: 1-line block ×4, first 2 shown]
	v_pk_add_f32 v[2:3], v[32:33], v[20:21]
	v_pk_add_f32 v[4:5], v[10:11], v[12:13]
	v_pk_add_f32 v[6:7], v[32:33], v[16:17] neg_lo:[0,1] neg_hi:[0,1]
	v_pk_add_f32 v[8:9], v[10:11], v[12:13] neg_lo:[0,1] neg_hi:[0,1]
	v_pk_add_f32 v[26:27], v[32:33], v[16:17]
	v_pk_add_f32 v[18:19], v[32:33], v[10:11] neg_lo:[0,1] neg_hi:[0,1]
	v_pk_add_f32 v[28:29], v[10:11], v[32:33] neg_lo:[0,1] neg_hi:[0,1]
	v_pk_add_f32 v[2:3], v[2:3], v[10:11]
	v_pk_fma_f32 v[4:5], v[4:5], 0.5, v[20:21] op_sel_hi:[1,0,1] neg_lo:[1,0,0] neg_hi:[1,0,0]
	v_pk_mul_f32 v[10:11], v[6:7], s[16:17] op_sel_hi:[1,0]
	v_pk_mul_f32 v[32:33], v[8:9], s[18:19] op_sel_hi:[1,0]
	v_pk_fma_f32 v[20:21], v[26:27], 0.5, v[20:21] op_sel_hi:[1,0,1] neg_lo:[1,0,0] neg_hi:[1,0,0]
	v_pk_mul_f32 v[8:9], v[8:9], s[16:17] op_sel_hi:[1,0]
	v_pk_add_f32 v[24:25], v[16:17], v[12:13] neg_lo:[0,1] neg_hi:[0,1]
	v_pk_add_f32 v[30:31], v[12:13], v[16:17] neg_lo:[0,1] neg_hi:[0,1]
	v_pk_mul_f32 v[6:7], v[6:7], s[18:19] op_sel_hi:[1,0]
	v_pk_add_f32 v[2:3], v[2:3], v[12:13]
	v_pk_add_f32 v[12:13], v[4:5], v[10:11] op_sel:[0,1] op_sel_hi:[1,0]
	v_pk_add_f32 v[4:5], v[4:5], v[10:11] op_sel:[0,1] op_sel_hi:[1,0] neg_lo:[0,1] neg_hi:[0,1]
	v_pk_add_f32 v[10:11], v[20:21], v[8:9] op_sel:[0,1] op_sel_hi:[1,0] neg_lo:[0,1] neg_hi:[0,1]
	v_pk_add_f32 v[8:9], v[20:21], v[8:9] op_sel:[0,1] op_sel_hi:[1,0]
	v_pk_add_f32 v[4:5], v[4:5], v[32:33] op_sel:[0,1] op_sel_hi:[1,0] neg_lo:[0,1] neg_hi:[0,1]
	v_pk_add_f32 v[12:13], v[12:13], v[32:33] op_sel:[0,1] op_sel_hi:[1,0]
	;; [unrolled: 2-line block ×3, first 2 shown]
	v_pk_add_f32 v[18:19], v[18:19], v[24:25]
	v_pk_add_f32 v[24:25], v[28:29], v[30:31]
	;; [unrolled: 1-line block ×3, first 2 shown]
	v_mov_b32_e32 v10, v12
	v_mov_b32_e32 v11, v5
	;; [unrolled: 1-line block ×6, first 2 shown]
	v_pk_fma_f32 v[6:7], v[18:19], s[12:13], v[10:11] op_sel_hi:[1,0,1]
	v_pk_fma_f32 v[10:11], v[24:25], s[12:13], v[16:17] op_sel_hi:[1,0,1]
	v_pk_fma_f32 v[4:5], v[18:19], s[12:13], v[4:5] op_sel_hi:[1,0,1]
	v_pk_fma_f32 v[8:9], v[24:25], s[12:13], v[8:9] op_sel_hi:[1,0,1]
	ds_write2_b64 v1, v[2:3], v[6:7] offset1:40
	ds_write2_b64 v1, v[10:11], v[8:9] offset0:80 offset1:120
	ds_write_b64 v1, v[4:5] offset:1280
	s_waitcnt lgkmcnt(0)
	s_barrier
	ds_read_b64 v[4:5], v0
	v_add3_u32 v10, 0, v34, v35
	ds_read2_b64 v[0:3], v10 offset0:40 offset1:80
	v_lshl_add_u64 v[8:9], v[22:23], 3, s[0:1]
	s_mul_i32 s0, s6, 40
	v_lshl_add_u64 v[6:7], v[14:15], 3, v[8:9]
	v_add_u32_e32 v14, s0, v14
	s_waitcnt lgkmcnt(1)
	global_store_dwordx2 v[6:7], v[4:5], off
	v_lshl_add_u64 v[4:5], v[14:15], 3, v[8:9]
	s_waitcnt lgkmcnt(0)
	global_store_dwordx2 v[4:5], v[0:1], off
	ds_read2_b64 v[4:7], v10 offset0:120 offset1:160
	v_add_u32_e32 v14, s0, v14
	v_lshl_add_u64 v[0:1], v[14:15], 3, v[8:9]
	v_add_u32_e32 v14, s0, v14
	global_store_dwordx2 v[0:1], v[2:3], off
	v_lshl_add_u64 v[0:1], v[14:15], 3, v[8:9]
	v_add_u32_e32 v14, s0, v14
	s_waitcnt lgkmcnt(0)
	global_store_dwordx2 v[0:1], v[4:5], off
	v_lshl_add_u64 v[0:1], v[14:15], 3, v[8:9]
	global_store_dwordx2 v[0:1], v[6:7], off
	s_endpgm
	.section	.rodata,"a",@progbits
	.p2align	6, 0x0
	.amdhsa_kernel fft_rtc_fwd_len200_factors_8_5_5_wgs_400_tpt_40_sp_op_CI_CI_sbrc_z_xy_diag
		.amdhsa_group_segment_fixed_size 0
		.amdhsa_private_segment_fixed_size 0
		.amdhsa_kernarg_size 104
		.amdhsa_user_sgpr_count 2
		.amdhsa_user_sgpr_dispatch_ptr 0
		.amdhsa_user_sgpr_queue_ptr 0
		.amdhsa_user_sgpr_kernarg_segment_ptr 1
		.amdhsa_user_sgpr_dispatch_id 0
		.amdhsa_user_sgpr_kernarg_preload_length 0
		.amdhsa_user_sgpr_kernarg_preload_offset 0
		.amdhsa_user_sgpr_private_segment_size 0
		.amdhsa_uses_dynamic_stack 0
		.amdhsa_enable_private_segment 0
		.amdhsa_system_sgpr_workgroup_id_x 1
		.amdhsa_system_sgpr_workgroup_id_y 0
		.amdhsa_system_sgpr_workgroup_id_z 0
		.amdhsa_system_sgpr_workgroup_info 0
		.amdhsa_system_vgpr_workitem_id 0
		.amdhsa_next_free_vgpr 36
		.amdhsa_next_free_sgpr 24
		.amdhsa_accum_offset 36
		.amdhsa_reserve_vcc 1
		.amdhsa_float_round_mode_32 0
		.amdhsa_float_round_mode_16_64 0
		.amdhsa_float_denorm_mode_32 3
		.amdhsa_float_denorm_mode_16_64 3
		.amdhsa_dx10_clamp 1
		.amdhsa_ieee_mode 1
		.amdhsa_fp16_overflow 0
		.amdhsa_tg_split 0
		.amdhsa_exception_fp_ieee_invalid_op 0
		.amdhsa_exception_fp_denorm_src 0
		.amdhsa_exception_fp_ieee_div_zero 0
		.amdhsa_exception_fp_ieee_overflow 0
		.amdhsa_exception_fp_ieee_underflow 0
		.amdhsa_exception_fp_ieee_inexact 0
		.amdhsa_exception_int_div_zero 0
	.end_amdhsa_kernel
	.text
.Lfunc_end0:
	.size	fft_rtc_fwd_len200_factors_8_5_5_wgs_400_tpt_40_sp_op_CI_CI_sbrc_z_xy_diag, .Lfunc_end0-fft_rtc_fwd_len200_factors_8_5_5_wgs_400_tpt_40_sp_op_CI_CI_sbrc_z_xy_diag
                                        ; -- End function
	.section	.AMDGPU.csdata,"",@progbits
; Kernel info:
; codeLenInByte = 2416
; NumSgprs: 30
; NumVgprs: 36
; NumAgprs: 0
; TotalNumVgprs: 36
; ScratchSize: 0
; MemoryBound: 0
; FloatMode: 240
; IeeeMode: 1
; LDSByteSize: 0 bytes/workgroup (compile time only)
; SGPRBlocks: 3
; VGPRBlocks: 4
; NumSGPRsForWavesPerEU: 30
; NumVGPRsForWavesPerEU: 36
; AccumOffset: 36
; Occupancy: 7
; WaveLimiterHint : 1
; COMPUTE_PGM_RSRC2:SCRATCH_EN: 0
; COMPUTE_PGM_RSRC2:USER_SGPR: 2
; COMPUTE_PGM_RSRC2:TRAP_HANDLER: 0
; COMPUTE_PGM_RSRC2:TGID_X_EN: 1
; COMPUTE_PGM_RSRC2:TGID_Y_EN: 0
; COMPUTE_PGM_RSRC2:TGID_Z_EN: 0
; COMPUTE_PGM_RSRC2:TIDIG_COMP_CNT: 0
; COMPUTE_PGM_RSRC3_GFX90A:ACCUM_OFFSET: 8
; COMPUTE_PGM_RSRC3_GFX90A:TG_SPLIT: 0
	.text
	.p2alignl 6, 3212836864
	.fill 256, 4, 3212836864
	.type	__hip_cuid_66ecd1d6511e5de0,@object ; @__hip_cuid_66ecd1d6511e5de0
	.section	.bss,"aw",@nobits
	.globl	__hip_cuid_66ecd1d6511e5de0
__hip_cuid_66ecd1d6511e5de0:
	.byte	0                               ; 0x0
	.size	__hip_cuid_66ecd1d6511e5de0, 1

	.ident	"AMD clang version 19.0.0git (https://github.com/RadeonOpenCompute/llvm-project roc-6.4.0 25133 c7fe45cf4b819c5991fe208aaa96edf142730f1d)"
	.section	".note.GNU-stack","",@progbits
	.addrsig
	.addrsig_sym __hip_cuid_66ecd1d6511e5de0
	.amdgpu_metadata
---
amdhsa.kernels:
  - .agpr_count:     0
    .args:
      - .actual_access:  read_only
        .address_space:  global
        .offset:         0
        .size:           8
        .value_kind:     global_buffer
      - .offset:         8
        .size:           8
        .value_kind:     by_value
      - .actual_access:  read_only
        .address_space:  global
        .offset:         16
        .size:           8
        .value_kind:     global_buffer
      - .actual_access:  read_only
        .address_space:  global
        .offset:         24
        .size:           8
        .value_kind:     global_buffer
      - .actual_access:  read_only
        .address_space:  global
        .offset:         32
        .size:           8
        .value_kind:     global_buffer
      - .offset:         40
        .size:           8
        .value_kind:     by_value
      - .actual_access:  read_only
        .address_space:  global
        .offset:         48
        .size:           8
        .value_kind:     global_buffer
      - .actual_access:  read_only
        .address_space:  global
        .offset:         56
        .size:           8
        .value_kind:     global_buffer
      - .offset:         64
        .size:           4
        .value_kind:     by_value
      - .actual_access:  read_only
        .address_space:  global
        .offset:         72
        .size:           8
        .value_kind:     global_buffer
      - .actual_access:  read_only
        .address_space:  global
        .offset:         80
        .size:           8
        .value_kind:     global_buffer
      - .actual_access:  read_only
        .address_space:  global
        .offset:         88
        .size:           8
        .value_kind:     global_buffer
      - .actual_access:  write_only
        .address_space:  global
        .offset:         96
        .size:           8
        .value_kind:     global_buffer
    .group_segment_fixed_size: 0
    .kernarg_segment_align: 8
    .kernarg_segment_size: 104
    .language:       OpenCL C
    .language_version:
      - 2
      - 0
    .max_flat_workgroup_size: 400
    .name:           fft_rtc_fwd_len200_factors_8_5_5_wgs_400_tpt_40_sp_op_CI_CI_sbrc_z_xy_diag
    .private_segment_fixed_size: 0
    .sgpr_count:     30
    .sgpr_spill_count: 0
    .symbol:         fft_rtc_fwd_len200_factors_8_5_5_wgs_400_tpt_40_sp_op_CI_CI_sbrc_z_xy_diag.kd
    .uniform_work_group_size: 1
    .uses_dynamic_stack: false
    .vgpr_count:     36
    .vgpr_spill_count: 0
    .wavefront_size: 64
amdhsa.target:   amdgcn-amd-amdhsa--gfx950
amdhsa.version:
  - 1
  - 2
...

	.end_amdgpu_metadata
